;; amdgpu-corpus repo=ROCm/rocFFT kind=compiled arch=gfx906 opt=O3
	.text
	.amdgcn_target "amdgcn-amd-amdhsa--gfx906"
	.amdhsa_code_object_version 6
	.protected	fft_rtc_fwd_len1100_factors_2_2_11_5_5_wgs_110_tpt_110_dp_ip_CI_unitstride_sbrr_R2C_dirReg ; -- Begin function fft_rtc_fwd_len1100_factors_2_2_11_5_5_wgs_110_tpt_110_dp_ip_CI_unitstride_sbrr_R2C_dirReg
	.globl	fft_rtc_fwd_len1100_factors_2_2_11_5_5_wgs_110_tpt_110_dp_ip_CI_unitstride_sbrr_R2C_dirReg
	.p2align	8
	.type	fft_rtc_fwd_len1100_factors_2_2_11_5_5_wgs_110_tpt_110_dp_ip_CI_unitstride_sbrr_R2C_dirReg,@function
fft_rtc_fwd_len1100_factors_2_2_11_5_5_wgs_110_tpt_110_dp_ip_CI_unitstride_sbrr_R2C_dirReg: ; @fft_rtc_fwd_len1100_factors_2_2_11_5_5_wgs_110_tpt_110_dp_ip_CI_unitstride_sbrr_R2C_dirReg
; %bb.0:
	s_load_dwordx2 s[2:3], s[4:5], 0x50
	s_load_dwordx4 s[8:11], s[4:5], 0x0
	s_load_dwordx2 s[12:13], s[4:5], 0x18
	v_mul_u32_u24_e32 v1, 0x254, v0
	v_add_u32_sdwa v5, s6, v1 dst_sel:DWORD dst_unused:UNUSED_PAD src0_sel:DWORD src1_sel:WORD_1
	v_mov_b32_e32 v3, 0
	s_waitcnt lgkmcnt(0)
	v_cmp_lt_u64_e64 s[0:1], s[10:11], 2
	v_mov_b32_e32 v1, 0
	v_mov_b32_e32 v6, v3
	s_and_b64 vcc, exec, s[0:1]
	v_mov_b32_e32 v2, 0
	s_cbranch_vccnz .LBB0_8
; %bb.1:
	s_load_dwordx2 s[0:1], s[4:5], 0x10
	s_add_u32 s6, s12, 8
	s_addc_u32 s7, s13, 0
	v_mov_b32_e32 v1, 0
	v_mov_b32_e32 v2, 0
	s_waitcnt lgkmcnt(0)
	s_add_u32 s14, s0, 8
	s_addc_u32 s15, s1, 0
	s_mov_b64 s[16:17], 1
.LBB0_2:                                ; =>This Inner Loop Header: Depth=1
	s_load_dwordx2 s[18:19], s[14:15], 0x0
                                        ; implicit-def: $vgpr7_vgpr8
	s_waitcnt lgkmcnt(0)
	v_or_b32_e32 v4, s19, v6
	v_cmp_ne_u64_e32 vcc, 0, v[3:4]
	s_and_saveexec_b64 s[0:1], vcc
	s_xor_b64 s[20:21], exec, s[0:1]
	s_cbranch_execz .LBB0_4
; %bb.3:                                ;   in Loop: Header=BB0_2 Depth=1
	v_cvt_f32_u32_e32 v4, s18
	v_cvt_f32_u32_e32 v7, s19
	s_sub_u32 s0, 0, s18
	s_subb_u32 s1, 0, s19
	v_mac_f32_e32 v4, 0x4f800000, v7
	v_rcp_f32_e32 v4, v4
	v_mul_f32_e32 v4, 0x5f7ffffc, v4
	v_mul_f32_e32 v7, 0x2f800000, v4
	v_trunc_f32_e32 v7, v7
	v_mac_f32_e32 v4, 0xcf800000, v7
	v_cvt_u32_f32_e32 v7, v7
	v_cvt_u32_f32_e32 v4, v4
	v_mul_lo_u32 v8, s0, v7
	v_mul_hi_u32 v9, s0, v4
	v_mul_lo_u32 v11, s1, v4
	v_mul_lo_u32 v10, s0, v4
	v_add_u32_e32 v8, v9, v8
	v_add_u32_e32 v8, v8, v11
	v_mul_hi_u32 v9, v4, v10
	v_mul_lo_u32 v11, v4, v8
	v_mul_hi_u32 v13, v4, v8
	v_mul_hi_u32 v12, v7, v10
	v_mul_lo_u32 v10, v7, v10
	v_mul_hi_u32 v14, v7, v8
	v_add_co_u32_e32 v9, vcc, v9, v11
	v_addc_co_u32_e32 v11, vcc, 0, v13, vcc
	v_mul_lo_u32 v8, v7, v8
	v_add_co_u32_e32 v9, vcc, v9, v10
	v_addc_co_u32_e32 v9, vcc, v11, v12, vcc
	v_addc_co_u32_e32 v10, vcc, 0, v14, vcc
	v_add_co_u32_e32 v8, vcc, v9, v8
	v_addc_co_u32_e32 v9, vcc, 0, v10, vcc
	v_add_co_u32_e32 v4, vcc, v4, v8
	v_addc_co_u32_e32 v7, vcc, v7, v9, vcc
	v_mul_lo_u32 v8, s0, v7
	v_mul_hi_u32 v9, s0, v4
	v_mul_lo_u32 v10, s1, v4
	v_mul_lo_u32 v11, s0, v4
	v_add_u32_e32 v8, v9, v8
	v_add_u32_e32 v8, v8, v10
	v_mul_lo_u32 v12, v4, v8
	v_mul_hi_u32 v13, v4, v11
	v_mul_hi_u32 v14, v4, v8
	;; [unrolled: 1-line block ×3, first 2 shown]
	v_mul_lo_u32 v11, v7, v11
	v_mul_hi_u32 v9, v7, v8
	v_add_co_u32_e32 v12, vcc, v13, v12
	v_addc_co_u32_e32 v13, vcc, 0, v14, vcc
	v_mul_lo_u32 v8, v7, v8
	v_add_co_u32_e32 v11, vcc, v12, v11
	v_addc_co_u32_e32 v10, vcc, v13, v10, vcc
	v_addc_co_u32_e32 v9, vcc, 0, v9, vcc
	v_add_co_u32_e32 v8, vcc, v10, v8
	v_addc_co_u32_e32 v9, vcc, 0, v9, vcc
	v_add_co_u32_e32 v4, vcc, v4, v8
	v_addc_co_u32_e32 v9, vcc, v7, v9, vcc
	v_mad_u64_u32 v[7:8], s[0:1], v5, v9, 0
	v_mul_hi_u32 v10, v5, v4
	v_add_co_u32_e32 v11, vcc, v10, v7
	v_addc_co_u32_e32 v12, vcc, 0, v8, vcc
	v_mad_u64_u32 v[7:8], s[0:1], v6, v4, 0
	v_mad_u64_u32 v[9:10], s[0:1], v6, v9, 0
	v_add_co_u32_e32 v4, vcc, v11, v7
	v_addc_co_u32_e32 v4, vcc, v12, v8, vcc
	v_addc_co_u32_e32 v7, vcc, 0, v10, vcc
	v_add_co_u32_e32 v4, vcc, v4, v9
	v_addc_co_u32_e32 v9, vcc, 0, v7, vcc
	v_mul_lo_u32 v10, s19, v4
	v_mul_lo_u32 v11, s18, v9
	v_mad_u64_u32 v[7:8], s[0:1], s18, v4, 0
	v_add3_u32 v8, v8, v11, v10
	v_sub_u32_e32 v10, v6, v8
	v_mov_b32_e32 v11, s19
	v_sub_co_u32_e32 v7, vcc, v5, v7
	v_subb_co_u32_e64 v10, s[0:1], v10, v11, vcc
	v_subrev_co_u32_e64 v11, s[0:1], s18, v7
	v_subbrev_co_u32_e64 v10, s[0:1], 0, v10, s[0:1]
	v_cmp_le_u32_e64 s[0:1], s19, v10
	v_cndmask_b32_e64 v12, 0, -1, s[0:1]
	v_cmp_le_u32_e64 s[0:1], s18, v11
	v_cndmask_b32_e64 v11, 0, -1, s[0:1]
	v_cmp_eq_u32_e64 s[0:1], s19, v10
	v_cndmask_b32_e64 v10, v12, v11, s[0:1]
	v_add_co_u32_e64 v11, s[0:1], 2, v4
	v_addc_co_u32_e64 v12, s[0:1], 0, v9, s[0:1]
	v_add_co_u32_e64 v13, s[0:1], 1, v4
	v_addc_co_u32_e64 v14, s[0:1], 0, v9, s[0:1]
	v_subb_co_u32_e32 v8, vcc, v6, v8, vcc
	v_cmp_ne_u32_e64 s[0:1], 0, v10
	v_cmp_le_u32_e32 vcc, s19, v8
	v_cndmask_b32_e64 v10, v14, v12, s[0:1]
	v_cndmask_b32_e64 v12, 0, -1, vcc
	v_cmp_le_u32_e32 vcc, s18, v7
	v_cndmask_b32_e64 v7, 0, -1, vcc
	v_cmp_eq_u32_e32 vcc, s19, v8
	v_cndmask_b32_e32 v7, v12, v7, vcc
	v_cmp_ne_u32_e32 vcc, 0, v7
	v_cndmask_b32_e64 v7, v13, v11, s[0:1]
	v_cndmask_b32_e32 v8, v9, v10, vcc
	v_cndmask_b32_e32 v7, v4, v7, vcc
.LBB0_4:                                ;   in Loop: Header=BB0_2 Depth=1
	s_andn2_saveexec_b64 s[0:1], s[20:21]
	s_cbranch_execz .LBB0_6
; %bb.5:                                ;   in Loop: Header=BB0_2 Depth=1
	v_cvt_f32_u32_e32 v4, s18
	s_sub_i32 s20, 0, s18
	v_rcp_iflag_f32_e32 v4, v4
	v_mul_f32_e32 v4, 0x4f7ffffe, v4
	v_cvt_u32_f32_e32 v4, v4
	v_mul_lo_u32 v7, s20, v4
	v_mul_hi_u32 v7, v4, v7
	v_add_u32_e32 v4, v4, v7
	v_mul_hi_u32 v4, v5, v4
	v_mul_lo_u32 v7, v4, s18
	v_add_u32_e32 v8, 1, v4
	v_sub_u32_e32 v7, v5, v7
	v_subrev_u32_e32 v9, s18, v7
	v_cmp_le_u32_e32 vcc, s18, v7
	v_cndmask_b32_e32 v7, v7, v9, vcc
	v_cndmask_b32_e32 v4, v4, v8, vcc
	v_add_u32_e32 v8, 1, v4
	v_cmp_le_u32_e32 vcc, s18, v7
	v_cndmask_b32_e32 v7, v4, v8, vcc
	v_mov_b32_e32 v8, v3
.LBB0_6:                                ;   in Loop: Header=BB0_2 Depth=1
	s_or_b64 exec, exec, s[0:1]
	v_mul_lo_u32 v4, v8, s18
	v_mul_lo_u32 v11, v7, s19
	v_mad_u64_u32 v[9:10], s[0:1], v7, s18, 0
	s_load_dwordx2 s[0:1], s[6:7], 0x0
	s_add_u32 s16, s16, 1
	v_add3_u32 v4, v10, v11, v4
	v_sub_co_u32_e32 v5, vcc, v5, v9
	v_subb_co_u32_e32 v4, vcc, v6, v4, vcc
	s_waitcnt lgkmcnt(0)
	v_mul_lo_u32 v4, s0, v4
	v_mul_lo_u32 v6, s1, v5
	v_mad_u64_u32 v[1:2], s[0:1], s0, v5, v[1:2]
	s_addc_u32 s17, s17, 0
	s_add_u32 s6, s6, 8
	v_add3_u32 v2, v6, v2, v4
	v_mov_b32_e32 v4, s10
	v_mov_b32_e32 v5, s11
	s_addc_u32 s7, s7, 0
	v_cmp_ge_u64_e32 vcc, s[16:17], v[4:5]
	s_add_u32 s14, s14, 8
	s_addc_u32 s15, s15, 0
	s_cbranch_vccnz .LBB0_9
; %bb.7:                                ;   in Loop: Header=BB0_2 Depth=1
	v_mov_b32_e32 v5, v7
	v_mov_b32_e32 v6, v8
	s_branch .LBB0_2
.LBB0_8:
	v_mov_b32_e32 v8, v6
	v_mov_b32_e32 v7, v5
.LBB0_9:
	s_lshl_b64 s[0:1], s[10:11], 3
	s_add_u32 s0, s12, s0
	s_addc_u32 s1, s13, s1
	s_load_dwordx2 s[6:7], s[0:1], 0x0
	s_load_dwordx2 s[10:11], s[4:5], 0x20
                                        ; implicit-def: $vgpr48
                                        ; implicit-def: $vgpr52
                                        ; implicit-def: $vgpr51
                                        ; implicit-def: $vgpr50
	s_waitcnt lgkmcnt(0)
	v_mad_u64_u32 v[1:2], s[0:1], s6, v7, v[1:2]
	s_mov_b32 s0, 0x253c826
	v_mul_lo_u32 v3, s6, v8
	v_mul_lo_u32 v4, s7, v7
	v_mul_hi_u32 v5, v0, s0
	v_cmp_gt_u64_e64 s[0:1], s[10:11], v[7:8]
	v_cmp_le_u64_e32 vcc, s[10:11], v[7:8]
	v_add3_u32 v2, v4, v2, v3
	v_mul_u32_u24_e32 v3, 0x6e, v5
	v_sub_u32_e32 v44, v0, v3
	s_and_saveexec_b64 s[4:5], vcc
	s_xor_b64 s[4:5], exec, s[4:5]
; %bb.10:
	v_add_u32_e32 v48, 0x6e, v44
	v_add_u32_e32 v52, 0xdc, v44
	;; [unrolled: 1-line block ×4, first 2 shown]
; %bb.11:
	s_or_saveexec_b64 s[4:5], s[4:5]
	v_lshlrev_b64 v[46:47], 4, v[1:2]
	s_xor_b64 exec, exec, s[4:5]
	s_cbranch_execz .LBB0_13
; %bb.12:
	v_mov_b32_e32 v45, 0
	v_mov_b32_e32 v0, s3
	v_add_co_u32_e32 v2, vcc, s2, v46
	v_addc_co_u32_e32 v3, vcc, v0, v47, vcc
	v_lshlrev_b64 v[0:1], 4, v[44:45]
	s_movk_i32 s6, 0x1000
	v_add_co_u32_e32 v23, vcc, v2, v0
	v_addc_co_u32_e32 v24, vcc, v3, v1, vcc
	v_add_co_u32_e32 v25, vcc, s6, v23
	v_addc_co_u32_e32 v26, vcc, 0, v24, vcc
	s_movk_i32 s6, 0x2000
	v_add_co_u32_e32 v40, vcc, s6, v23
	v_addc_co_u32_e32 v41, vcc, 0, v24, vcc
	v_add_co_u32_e32 v42, vcc, 0x3000, v23
	global_load_dwordx4 v[0:3], v[23:24], off
	global_load_dwordx4 v[4:7], v[23:24], off offset:1760
	global_load_dwordx4 v[8:11], v[23:24], off offset:3520
	;; [unrolled: 1-line block ×4, first 2 shown]
	s_nop 0
	global_load_dwordx4 v[20:23], v[40:41], off offset:608
	v_addc_co_u32_e32 v43, vcc, 0, v24, vcc
	global_load_dwordx4 v[24:27], v[40:41], off offset:2368
	global_load_dwordx4 v[28:31], v[42:43], off offset:32
	;; [unrolled: 1-line block ×4, first 2 shown]
	v_lshl_add_u32 v40, v44, 4, 0
	v_add_u32_e32 v48, 0x6e, v44
	v_add_u32_e32 v52, 0xdc, v44
	;; [unrolled: 1-line block ×4, first 2 shown]
	s_waitcnt vmcnt(9)
	ds_write_b128 v40, v[0:3]
	s_waitcnt vmcnt(8)
	ds_write_b128 v40, v[4:7] offset:1760
	s_waitcnt vmcnt(7)
	ds_write_b128 v40, v[8:11] offset:3520
	;; [unrolled: 2-line block ×9, first 2 shown]
.LBB0_13:
	s_or_b64 exec, exec, s[4:5]
	v_lshlrev_b32_e32 v45, 4, v44
	v_add_u32_e32 v101, 0, v45
	s_waitcnt lgkmcnt(0)
	s_barrier
	ds_read_b128 v[0:3], v101 offset:8800
	ds_read_b128 v[4:7], v101
	ds_read_b128 v[8:11], v101 offset:1760
	ds_read_b128 v[12:15], v101 offset:7040
	;; [unrolled: 1-line block ×8, first 2 shown]
	s_waitcnt lgkmcnt(8)
	v_add_f64 v[0:1], v[4:5], -v[0:1]
	v_add_f64 v[2:3], v[6:7], -v[2:3]
	v_add_u32_e32 v40, v101, v45
	s_waitcnt lgkmcnt(0)
	s_barrier
	v_lshl_add_u32 v103, v48, 5, 0
	v_and_b32_e32 v74, 1, v44
	v_fma_f64 v[4:5], v[4:5], 2.0, -v[0:1]
	v_fma_f64 v[6:7], v[6:7], 2.0, -v[2:3]
	v_lshl_add_u32 v104, v52, 5, 0
	v_lshl_add_u32 v102, v51, 5, 0
	;; [unrolled: 1-line block ×3, first 2 shown]
	ds_write_b128 v40, v[4:7]
	ds_write_b128 v40, v[0:3] offset:16
	v_add_f64 v[0:1], v[8:9], -v[16:17]
	v_add_f64 v[2:3], v[10:11], -v[18:19]
	;; [unrolled: 1-line block ×8, first 2 shown]
	v_fma_f64 v[8:9], v[8:9], 2.0, -v[0:1]
	v_fma_f64 v[10:11], v[10:11], 2.0, -v[2:3]
	;; [unrolled: 1-line block ×8, first 2 shown]
	ds_write_b128 v103, v[8:11]
	ds_write_b128 v103, v[0:3] offset:16
	v_lshlrev_b32_e32 v0, 4, v74
	ds_write_b128 v104, v[24:27]
	ds_write_b128 v104, v[4:7] offset:16
	ds_write_b128 v102, v[28:31]
	ds_write_b128 v102, v[16:19] offset:16
	;; [unrolled: 2-line block ×3, first 2 shown]
	s_waitcnt lgkmcnt(0)
	s_barrier
	global_load_dwordx4 v[0:3], v0, s[8:9]
	v_lshlrev_b32_e32 v53, 4, v48
	v_lshlrev_b32_e32 v54, 4, v52
	;; [unrolled: 1-line block ×4, first 2 shown]
	s_movk_i32 s4, 0xfc
	v_lshlrev_b32_e32 v4, 1, v44
	s_movk_i32 s5, 0x1fc
	v_lshlrev_b32_e32 v5, 1, v48
	;; [unrolled: 2-line block ×3, first 2 shown]
	v_sub_u32_e32 v24, v103, v53
	v_sub_u32_e32 v25, v104, v54
	;; [unrolled: 1-line block ×4, first 2 shown]
	v_and_or_b32 v4, v4, s4, v74
	v_and_or_b32 v5, v5, s5, v74
	;; [unrolled: 1-line block ×3, first 2 shown]
	v_lshl_add_u32 v75, v4, 4, 0
	v_lshl_add_u32 v76, v5, 4, 0
	;; [unrolled: 1-line block ×3, first 2 shown]
	ds_read_b128 v[4:7], v101 offset:10560
	ds_read_b128 v[8:11], v101 offset:12320
	;; [unrolled: 1-line block ×5, first 2 shown]
	ds_read_b128 v[28:31], v101
	ds_read_b128 v[32:35], v24
	ds_read_b128 v[40:43], v25
	ds_read_b128 v[56:59], v26
	ds_read_b128 v[60:63], v27
	s_waitcnt vmcnt(0) lgkmcnt(0)
	s_barrier
	s_movk_i32 s4, 0x7fc
	v_mul_f64 v[24:25], v[22:23], v[2:3]
	v_mul_f64 v[26:27], v[20:21], v[2:3]
	;; [unrolled: 1-line block ×10, first 2 shown]
	v_fma_f64 v[20:21], v[20:21], v[0:1], -v[24:25]
	v_fma_f64 v[22:23], v[22:23], v[0:1], v[26:27]
	v_fma_f64 v[24:25], v[4:5], v[0:1], -v[36:37]
	v_fma_f64 v[26:27], v[6:7], v[0:1], v[38:39]
	;; [unrolled: 2-line block ×5, first 2 shown]
	v_add_f64 v[4:5], v[28:29], -v[20:21]
	v_add_f64 v[6:7], v[30:31], -v[22:23]
	;; [unrolled: 1-line block ×10, first 2 shown]
	v_fma_f64 v[0:1], v[28:29], 2.0, -v[4:5]
	v_fma_f64 v[2:3], v[30:31], 2.0, -v[6:7]
	;; [unrolled: 1-line block ×10, first 2 shown]
	v_lshlrev_b32_e32 v40, 1, v51
	v_and_or_b32 v40, v40, s6, v74
	v_lshl_add_u32 v40, v40, 4, 0
	ds_write_b128 v75, v[4:7] offset:32
	ds_write_b128 v75, v[0:3]
	ds_write_b128 v76, v[12:15]
	ds_write_b128 v76, v[8:11] offset:32
	ds_write_b128 v77, v[16:19]
	ds_write_b128 v77, v[20:23] offset:32
	;; [unrolled: 2-line block ×3, first 2 shown]
	v_lshlrev_b32_e32 v40, 1, v50
	v_and_or_b32 v40, v40, s4, v74
	s_movk_i32 s4, 0x64
	v_lshl_add_u32 v40, v40, 4, 0
	v_cmp_gt_u32_e32 vcc, s4, v44
	ds_write_b128 v40, v[32:35]
	ds_write_b128 v40, v[36:39] offset:32
	s_waitcnt lgkmcnt(0)
	s_barrier
	s_waitcnt lgkmcnt(0)
                                        ; implicit-def: $vgpr42_vgpr43
	s_and_saveexec_b64 s[4:5], vcc
	s_cbranch_execz .LBB0_15
; %bb.14:
	ds_read_b128 v[0:3], v101
	ds_read_b128 v[4:7], v101 offset:1600
	ds_read_b128 v[12:15], v101 offset:3200
	;; [unrolled: 1-line block ×10, first 2 shown]
.LBB0_15:
	s_or_b64 exec, exec, s[4:5]
	v_sub_u32_e32 v106, 0, v53
	v_sub_u32_e32 v107, 0, v54
	v_sub_u32_e32 v108, 0, v55
	s_waitcnt lgkmcnt(0)
	s_barrier
	s_and_saveexec_b64 s[4:5], vcc
	s_cbranch_execz .LBB0_17
; %bb.16:
	v_and_b32_e32 v109, 3, v44
	v_mul_u32_u24_e32 v53, 10, v109
	v_lshlrev_b32_e32 v57, 4, v53
	global_load_dwordx4 v[53:56], v57, s[8:9] offset:96
	global_load_dwordx4 v[61:64], v57, s[8:9] offset:112
	;; [unrolled: 1-line block ×10, first 2 shown]
	s_mov_b32 s6, 0x9bcd5057
	s_mov_b32 s7, 0xbfeeb42a
	;; [unrolled: 1-line block ×30, first 2 shown]
	s_waitcnt vmcnt(9)
	v_mul_f64 v[57:58], v[20:21], v[55:56]
	v_mul_f64 v[55:56], v[22:23], v[55:56]
	s_waitcnt vmcnt(8)
	v_mul_f64 v[81:82], v[28:29], v[63:64]
	s_waitcnt vmcnt(6)
	v_mul_f64 v[97:98], v[24:25], v[71:72]
	v_mul_f64 v[63:64], v[30:31], v[63:64]
	;; [unrolled: 1-line block ×3, first 2 shown]
	s_waitcnt vmcnt(3)
	v_mul_f64 v[118:119], v[12:13], v[79:80]
	v_mul_f64 v[79:80], v[14:15], v[79:80]
	s_waitcnt vmcnt(2)
	v_mul_f64 v[120:121], v[4:5], v[91:92]
	s_waitcnt vmcnt(1)
	v_mul_f64 v[122:123], v[40:41], v[95:96]
	v_mul_f64 v[67:68], v[18:19], v[67:68]
	;; [unrolled: 1-line block ×5, first 2 shown]
	s_waitcnt vmcnt(0)
	v_mul_f64 v[124:125], v[36:37], v[112:113]
	v_fma_f64 v[26:27], v[26:27], v[69:70], v[97:98]
	v_fma_f64 v[79:80], v[12:13], v[77:78], -v[79:80]
	v_fma_f64 v[97:98], v[6:7], v[89:90], v[120:121]
	v_fma_f64 v[12:13], v[42:43], v[93:94], v[122:123]
	v_mul_f64 v[114:115], v[8:9], v[75:76]
	v_mul_f64 v[116:117], v[32:33], v[85:86]
	;; [unrolled: 1-line block ×4, first 2 shown]
	v_fma_f64 v[57:58], v[22:23], v[53:54], v[57:58]
	v_fma_f64 v[59:60], v[20:21], v[53:54], -v[55:56]
	v_fma_f64 v[53:54], v[30:31], v[61:62], v[81:82]
	v_fma_f64 v[55:56], v[28:29], v[61:62], -v[63:64]
	;; [unrolled: 2-line block ×3, first 2 shown]
	v_fma_f64 v[24:25], v[24:25], v[69:70], -v[99:100]
	v_fma_f64 v[87:88], v[14:15], v[77:78], v[118:119]
	v_fma_f64 v[89:90], v[4:5], v[89:90], -v[91:92]
	v_fma_f64 v[14:15], v[40:41], v[93:94], -v[95:96]
	v_fma_f64 v[16:17], v[38:39], v[110:111], v[124:125]
	v_add_f64 v[99:100], v[97:98], v[12:13]
	v_mul_f64 v[75:76], v[10:11], v[75:76]
	v_fma_f64 v[18:19], v[36:37], v[110:111], -v[112:113]
	v_fma_f64 v[81:82], v[10:11], v[73:74], v[114:115]
	v_fma_f64 v[20:21], v[34:35], v[83:84], v[116:117]
	v_fma_f64 v[22:23], v[32:33], v[83:84], -v[85:86]
	v_add_f64 v[83:84], v[89:90], -v[14:15]
	v_add_f64 v[95:96], v[87:88], v[16:17]
	v_add_f64 v[91:92], v[97:98], -v[12:13]
	v_mul_f64 v[4:5], v[99:100], s[6:7]
	v_fma_f64 v[77:78], v[8:9], v[73:74], -v[75:76]
	v_add_f64 v[65:66], v[79:80], -v[18:19]
	v_add_f64 v[73:74], v[89:90], v[14:15]
	v_add_f64 v[75:76], v[87:88], -v[16:17]
	v_add_f64 v[93:94], v[81:82], v[20:21]
	v_mul_f64 v[8:9], v[95:96], s[16:17]
	v_mul_f64 v[6:7], v[91:92], s[12:13]
	v_fma_f64 v[126:127], v[83:84], s[10:11], v[4:5]
	v_add_f64 v[67:68], v[79:80], v[18:19]
	v_add_f64 v[63:64], v[77:78], -v[22:23]
	v_add_f64 v[69:70], v[81:82], -v[20:21]
	v_add_f64 v[85:86], v[71:72], v[26:27]
	v_mul_f64 v[10:11], v[75:76], s[22:23]
	v_mul_f64 v[110:111], v[93:94], s[14:15]
	v_fma_f64 v[128:129], v[73:74], s[6:7], v[6:7]
	v_fma_f64 v[4:5], v[83:84], s[12:13], v[4:5]
	;; [unrolled: 1-line block ×3, first 2 shown]
	v_fma_f64 v[6:7], v[73:74], s[6:7], -v[6:7]
	v_add_f64 v[126:127], v[2:3], v[126:127]
	v_add_f64 v[42:43], v[77:78], v[22:23]
	v_add_f64 v[38:39], v[61:62], -v[24:25]
	v_add_f64 v[40:41], v[71:72], -v[26:27]
	v_add_f64 v[36:37], v[57:58], v[53:54]
	v_mul_f64 v[112:113], v[69:70], s[20:21]
	v_mul_f64 v[114:115], v[85:86], s[24:25]
	v_fma_f64 v[134:135], v[67:68], s[16:17], v[10:11]
	v_fma_f64 v[8:9], v[65:66], s[22:23], v[8:9]
	v_add_f64 v[128:129], v[0:1], v[128:129]
	v_fma_f64 v[10:11], v[67:68], s[16:17], -v[10:11]
	v_fma_f64 v[136:137], v[63:64], s[26:27], v[110:111]
	v_add_f64 v[4:5], v[2:3], v[4:5]
	v_add_f64 v[6:7], v[0:1], v[6:7]
	;; [unrolled: 1-line block ×4, first 2 shown]
	v_add_f64 v[28:29], v[59:60], -v[55:56]
	v_add_f64 v[34:35], v[57:58], -v[53:54]
	v_mul_f64 v[116:117], v[40:41], s[38:39]
	v_mul_f64 v[118:119], v[36:37], s[30:31]
	;; [unrolled: 1-line block ×3, first 2 shown]
	v_fma_f64 v[138:139], v[42:43], s[14:15], v[112:113]
	v_fma_f64 v[110:111], v[63:64], s[20:21], v[110:111]
	v_add_f64 v[128:129], v[134:135], v[128:129]
	v_fma_f64 v[132:133], v[38:39], s[28:29], v[114:115]
	v_fma_f64 v[112:113], v[42:43], s[14:15], -v[112:113]
	v_add_f64 v[4:5], v[8:9], v[4:5]
	v_add_f64 v[6:7], v[10:11], v[6:7]
	;; [unrolled: 1-line block ×4, first 2 shown]
	v_mul_f64 v[120:121], v[34:35], s[34:35]
	v_mul_f64 v[124:125], v[95:96], s[30:31]
	;; [unrolled: 1-line block ×3, first 2 shown]
	v_fma_f64 v[134:135], v[32:33], s[24:25], v[116:117]
	v_fma_f64 v[8:9], v[28:29], s[36:37], v[118:119]
	v_add_f64 v[126:127], v[138:139], v[128:129]
	v_fma_f64 v[114:115], v[38:39], s[38:39], v[114:115]
	v_fma_f64 v[128:129], v[83:84], s[26:27], v[122:123]
	v_fma_f64 v[116:117], v[32:33], s[24:25], -v[116:117]
	v_add_f64 v[4:5], v[110:111], v[4:5]
	v_add_f64 v[6:7], v[112:113], v[6:7]
	;; [unrolled: 1-line block ×3, first 2 shown]
	v_fma_f64 v[110:111], v[30:31], s[30:31], v[120:121]
	v_add_f64 v[112:113], v[134:135], v[126:127]
	v_fma_f64 v[132:133], v[65:66], s[34:35], v[124:125]
	v_add_f64 v[128:129], v[2:3], v[128:129]
	;; [unrolled: 2-line block ×3, first 2 shown]
	v_add_f64 v[116:117], v[116:117], v[6:7]
	v_mul_f64 v[136:137], v[75:76], s[36:37]
	v_add_f64 v[6:7], v[8:9], v[10:11]
	v_fma_f64 v[8:9], v[28:29], s[34:35], v[118:119]
	v_mul_f64 v[126:127], v[93:94], s[16:17]
	v_add_f64 v[4:5], v[110:111], v[112:113]
	v_add_f64 v[110:111], v[132:133], v[128:129]
	;; [unrolled: 1-line block ×3, first 2 shown]
	v_fma_f64 v[120:121], v[30:31], s[30:31], -v[120:121]
	v_fma_f64 v[132:133], v[67:68], s[30:31], v[136:137]
	v_mul_f64 v[118:119], v[85:86], s[6:7]
	v_add_f64 v[10:11], v[8:9], v[114:115]
	v_fma_f64 v[8:9], v[83:84], s[20:21], v[122:123]
	v_fma_f64 v[114:115], v[73:74], s[14:15], -v[130:131]
	v_fma_f64 v[112:113], v[63:64], s[22:23], v[126:127]
	v_mul_f64 v[134:135], v[69:70], s[18:19]
	v_fma_f64 v[124:125], v[65:66], s[36:37], v[124:125]
	v_add_f64 v[122:123], v[132:133], v[128:129]
	v_mul_f64 v[130:131], v[40:41], s[12:13]
	v_fma_f64 v[126:127], v[63:64], s[18:19], v[126:127]
	v_add_f64 v[132:133], v[2:3], v[8:9]
	v_add_f64 v[8:9], v[120:121], v[116:117]
	v_fma_f64 v[116:117], v[67:68], s[30:31], -v[136:137]
	v_add_f64 v[114:115], v[0:1], v[114:115]
	v_mul_f64 v[120:121], v[99:100], s[30:31]
	v_add_f64 v[110:111], v[112:113], v[110:111]
	v_fma_f64 v[112:113], v[38:39], s[10:11], v[118:119]
	v_fma_f64 v[128:129], v[42:43], s[16:17], v[134:135]
	v_add_f64 v[124:125], v[124:125], v[132:133]
	v_mul_f64 v[132:133], v[95:96], s[6:7]
	v_mul_f64 v[136:137], v[91:92], s[34:35]
	v_add_f64 v[114:115], v[116:117], v[114:115]
	v_fma_f64 v[116:117], v[83:84], s[36:37], v[120:121]
	v_mul_f64 v[138:139], v[34:35], s[38:39]
	v_add_f64 v[110:111], v[112:113], v[110:111]
	v_add_f64 v[112:113], v[128:129], v[122:123]
	v_fma_f64 v[122:123], v[32:33], s[6:7], v[130:131]
	v_mul_f64 v[128:129], v[36:37], s[24:25]
	v_fma_f64 v[134:135], v[42:43], s[16:17], -v[134:135]
	v_add_f64 v[124:125], v[126:127], v[124:125]
	v_add_f64 v[116:117], v[2:3], v[116:117]
	v_fma_f64 v[126:127], v[65:66], s[12:13], v[132:133]
	v_fma_f64 v[140:141], v[73:74], s[30:31], v[136:137]
	v_mul_f64 v[142:143], v[75:76], s[10:11]
	v_mul_f64 v[146:147], v[93:94], s[24:25]
	v_add_f64 v[122:123], v[122:123], v[112:113]
	v_fma_f64 v[112:113], v[28:29], s[28:29], v[128:129]
	v_fma_f64 v[144:145], v[30:31], s[24:25], v[138:139]
	v_add_f64 v[114:115], v[134:135], v[114:115]
	v_fma_f64 v[118:119], v[38:39], s[12:13], v[118:119]
	v_fma_f64 v[130:131], v[32:33], s[6:7], -v[130:131]
	v_add_f64 v[116:117], v[126:127], v[116:117]
	v_add_f64 v[126:127], v[0:1], v[140:141]
	v_fma_f64 v[134:135], v[67:68], s[6:7], v[142:143]
	v_mul_f64 v[140:141], v[69:70], s[38:39]
	v_fma_f64 v[148:149], v[63:64], s[28:29], v[146:147]
	v_mul_f64 v[150:151], v[85:86], s[16:17]
	v_add_f64 v[112:113], v[112:113], v[110:111]
	v_add_f64 v[110:111], v[144:145], v[122:123]
	;; [unrolled: 1-line block ×3, first 2 shown]
	v_fma_f64 v[122:123], v[28:29], s[38:39], v[128:129]
	v_add_f64 v[124:125], v[134:135], v[126:127]
	v_fma_f64 v[126:127], v[42:43], s[24:25], v[140:141]
	v_add_f64 v[128:129], v[148:149], v[116:117]
	v_mul_f64 v[134:135], v[40:41], s[18:19]
	v_fma_f64 v[144:145], v[38:39], s[22:23], v[150:151]
	v_add_f64 v[114:115], v[130:131], v[114:115]
	v_mul_f64 v[130:131], v[36:37], s[14:15]
	v_fma_f64 v[138:139], v[30:31], s[24:25], -v[138:139]
	v_fma_f64 v[120:121], v[83:84], s[34:35], v[120:121]
	v_add_f64 v[116:117], v[122:123], v[118:119]
	v_add_f64 v[118:119], v[126:127], v[124:125]
	v_fma_f64 v[122:123], v[32:33], s[16:17], v[134:135]
	v_add_f64 v[124:125], v[144:145], v[128:129]
	v_fma_f64 v[126:127], v[73:74], s[30:31], -v[136:137]
	v_fma_f64 v[128:129], v[28:29], s[26:27], v[130:131]
	v_mul_f64 v[136:137], v[99:100], s[24:25]
	v_add_f64 v[114:115], v[138:139], v[114:115]
	v_fma_f64 v[132:133], v[65:66], s[10:11], v[132:133]
	v_add_f64 v[138:139], v[2:3], v[120:121]
	v_add_f64 v[118:119], v[122:123], v[118:119]
	v_fma_f64 v[122:123], v[67:68], s[6:7], -v[142:143]
	v_add_f64 v[126:127], v[0:1], v[126:127]
	v_add_f64 v[120:121], v[128:129], v[124:125]
	v_fma_f64 v[124:125], v[83:84], s[38:39], v[136:137]
	v_mul_f64 v[128:129], v[95:96], s[14:15]
	v_fma_f64 v[144:145], v[63:64], s[38:39], v[146:147]
	v_add_f64 v[132:133], v[132:133], v[138:139]
	v_mul_f64 v[138:139], v[91:92], s[28:29]
	v_mul_f64 v[142:143], v[34:35], s[20:21]
	v_add_f64 v[122:123], v[122:123], v[126:127]
	v_fma_f64 v[126:127], v[42:43], s[24:25], -v[140:141]
	v_add_f64 v[124:125], v[2:3], v[124:125]
	v_fma_f64 v[140:141], v[65:66], s[26:27], v[128:129]
	v_mul_f64 v[146:147], v[93:94], s[6:7]
	v_mul_f64 v[154:155], v[75:76], s[20:21]
	v_fma_f64 v[152:153], v[73:74], s[24:25], v[138:139]
	v_add_f64 v[132:133], v[144:145], v[132:133]
	v_fma_f64 v[144:145], v[38:39], s[18:19], v[150:151]
	v_fma_f64 v[148:149], v[30:31], s[14:15], v[142:143]
	v_add_f64 v[122:123], v[126:127], v[122:123]
	v_add_f64 v[124:125], v[140:141], v[124:125]
	v_fma_f64 v[126:127], v[63:64], s[12:13], v[146:147]
	v_mul_f64 v[140:141], v[85:86], s[30:31]
	v_add_f64 v[150:151], v[0:1], v[152:153]
	v_fma_f64 v[152:153], v[67:68], s[14:15], v[154:155]
	v_mul_f64 v[156:157], v[69:70], s[10:11]
	v_add_f64 v[132:133], v[144:145], v[132:133]
	v_fma_f64 v[130:131], v[28:29], s[20:21], v[130:131]
	v_add_f64 v[118:119], v[148:149], v[118:119]
	v_add_f64 v[126:127], v[126:127], v[124:125]
	v_fma_f64 v[144:145], v[38:39], s[34:35], v[140:141]
	v_fma_f64 v[128:129], v[65:66], s[20:21], v[128:129]
	v_add_f64 v[148:149], v[152:153], v[150:151]
	v_fma_f64 v[150:151], v[42:43], s[6:7], v[156:157]
	v_mul_f64 v[152:153], v[36:37], s[16:17]
	v_add_f64 v[124:125], v[130:131], v[132:133]
	v_fma_f64 v[130:131], v[83:84], s[28:29], v[136:137]
	v_add_f64 v[89:90], v[0:1], v[89:90]
	v_add_f64 v[126:127], v[144:145], v[126:127]
	v_fma_f64 v[134:135], v[32:33], s[16:17], -v[134:135]
	v_fma_f64 v[142:143], v[30:31], s[14:15], -v[142:143]
	v_add_f64 v[132:133], v[150:151], v[148:149]
	v_fma_f64 v[148:149], v[28:29], s[18:19], v[152:153]
	v_mul_f64 v[150:151], v[99:100], s[16:17]
	v_add_f64 v[130:131], v[2:3], v[130:131]
	v_add_f64 v[79:80], v[89:90], v[79:80]
	v_fma_f64 v[136:137], v[73:74], s[24:25], -v[138:139]
	v_add_f64 v[122:123], v[134:135], v[122:123]
	v_mul_f64 v[134:135], v[40:41], s[36:37]
	v_mul_f64 v[144:145], v[34:35], s[22:23]
	v_add_f64 v[99:100], v[148:149], v[126:127]
	v_mul_f64 v[89:90], v[91:92], s[18:19]
	v_add_f64 v[126:127], v[128:129], v[130:131]
	v_add_f64 v[130:131], v[2:3], v[97:98]
	;; [unrolled: 1-line block ×4, first 2 shown]
	v_fma_f64 v[138:139], v[32:33], s[30:31], v[134:135]
	v_fma_f64 v[142:143], v[67:68], s[14:15], -v[154:155]
	v_add_f64 v[136:137], v[0:1], v[136:137]
	v_fma_f64 v[128:129], v[63:64], s[10:11], v[146:147]
	v_mul_f64 v[95:96], v[95:96], s[24:25]
	v_add_f64 v[87:88], v[130:131], v[87:88]
	v_add_f64 v[61:62], v[77:78], v[61:62]
	v_fma_f64 v[79:80], v[73:74], s[16:17], v[89:90]
	v_add_f64 v[132:133], v[138:139], v[132:133]
	v_fma_f64 v[138:139], v[30:31], s[16:17], v[144:145]
	v_add_f64 v[136:137], v[142:143], v[136:137]
	v_fma_f64 v[142:143], v[42:43], s[6:7], -v[156:157]
	v_mul_f64 v[75:76], v[75:76], s[28:29]
	v_add_f64 v[81:82], v[87:88], v[81:82]
	v_add_f64 v[59:60], v[61:62], v[59:60]
	v_fma_f64 v[73:74], v[73:74], s[16:17], -v[89:90]
	v_add_f64 v[126:127], v[128:129], v[126:127]
	v_add_f64 v[97:98], v[138:139], v[132:133]
	v_fma_f64 v[132:133], v[83:84], s[22:23], v[150:151]
	v_fma_f64 v[83:84], v[83:84], s[18:19], v[150:151]
	;; [unrolled: 1-line block ×3, first 2 shown]
	v_add_f64 v[71:72], v[81:82], v[71:72]
	v_add_f64 v[55:56], v[59:60], v[55:56]
	;; [unrolled: 1-line block ×3, first 2 shown]
	v_fma_f64 v[136:137], v[65:66], s[38:39], v[95:96]
	v_mul_f64 v[87:88], v[93:94], s[30:31]
	v_add_f64 v[132:133], v[2:3], v[132:133]
	v_add_f64 v[77:78], v[0:1], v[79:80]
	v_fma_f64 v[89:90], v[67:68], s[24:25], v[75:76]
	v_add_f64 v[57:58], v[71:72], v[57:58]
	v_add_f64 v[2:3], v[2:3], v[83:84]
	v_mul_f64 v[61:62], v[69:70], s[34:35]
	v_add_f64 v[0:1], v[0:1], v[73:74]
	v_fma_f64 v[65:66], v[65:66], s[28:29], v[95:96]
	v_fma_f64 v[67:68], v[67:68], s[24:25], -v[75:76]
	v_add_f64 v[24:25], v[55:56], v[24:25]
	v_add_f64 v[91:92], v[128:129], v[126:127]
	;; [unrolled: 1-line block ×4, first 2 shown]
	v_fma_f64 v[81:82], v[63:64], s[36:37], v[87:88]
	v_mul_f64 v[85:86], v[85:86], s[14:15]
	v_fma_f64 v[57:58], v[42:43], s[30:31], v[61:62]
	v_fma_f64 v[59:60], v[63:64], s[34:35], v[87:88]
	v_add_f64 v[2:3], v[65:66], v[2:3]
	v_fma_f64 v[42:43], v[42:43], s[30:31], -v[61:62]
	v_add_f64 v[26:27], v[53:54], v[26:27]
	v_mul_f64 v[40:41], v[40:41], s[20:21]
	v_add_f64 v[0:1], v[67:68], v[0:1]
	v_add_f64 v[71:72], v[89:90], v[77:78]
	v_add_f64 v[22:23], v[24:25], v[22:23]
	v_add_f64 v[79:80], v[81:82], v[126:127]
	v_fma_f64 v[81:82], v[38:39], s[26:27], v[85:86]
	v_fma_f64 v[38:39], v[38:39], s[20:21], v[85:86]
	v_add_f64 v[20:21], v[26:27], v[20:21]
	v_mul_f64 v[36:37], v[36:37], s[6:7]
	v_add_f64 v[2:3], v[59:60], v[2:3]
	v_fma_f64 v[55:56], v[32:33], s[14:15], -v[40:41]
	v_add_f64 v[0:1], v[42:43], v[0:1]
	v_mul_f64 v[24:25], v[34:35], s[12:13]
	v_fma_f64 v[134:135], v[32:33], s[30:31], -v[134:135]
	v_add_f64 v[53:54], v[57:58], v[71:72]
	v_fma_f64 v[26:27], v[32:33], s[14:15], v[40:41]
	v_add_f64 v[20:21], v[20:21], v[16:17]
	v_add_f64 v[18:19], v[22:23], v[18:19]
	v_fma_f64 v[128:129], v[28:29], s[22:23], v[152:153]
	v_fma_f64 v[32:33], v[28:29], s[10:11], v[36:37]
	;; [unrolled: 1-line block ×3, first 2 shown]
	v_add_f64 v[34:35], v[38:39], v[2:3]
	v_add_f64 v[36:37], v[55:56], v[0:1]
	v_fma_f64 v[22:23], v[30:31], s[6:7], -v[24:25]
	v_add_f64 v[93:94], v[134:135], v[130:131]
	v_fma_f64 v[130:131], v[30:31], s[16:17], -v[144:145]
	v_add_f64 v[69:70], v[81:82], v[79:80]
	v_fma_f64 v[30:31], v[30:31], s[6:7], v[24:25]
	v_add_f64 v[26:27], v[26:27], v[53:54]
	v_add_f64 v[20:21], v[20:21], v[12:13]
	;; [unrolled: 1-line block ×7, first 2 shown]
	v_lshrrev_b32_e32 v12, 2, v44
	v_mul_u32_u24_e32 v12, 44, v12
	v_or_b32_e32 v12, v12, v109
	v_lshl_add_u32 v12, v12, 4, 0
	v_add_f64 v[24:25], v[32:33], v[69:70]
	v_add_f64 v[22:23], v[30:31], v[26:27]
	ds_write_b128 v12, v[18:21]
	ds_write_b128 v12, v[14:17] offset:64
	ds_write_b128 v12, v[0:3] offset:128
	;; [unrolled: 1-line block ×10, first 2 shown]
.LBB0_17:
	s_or_b64 exec, exec, s[4:5]
	s_movk_i32 s4, 0xbb
	v_mul_lo_u16_sdwa v0, v44, s4 dst_sel:DWORD dst_unused:UNUSED_PAD src0_sel:BYTE_0 src1_sel:DWORD
	v_lshrrev_b16_e32 v8, 13, v0
	v_mul_lo_u16_e32 v0, 44, v8
	v_sub_u16_e32 v109, v44, v0
	v_mov_b32_e32 v9, 6
	v_lshlrev_b32_sdwa v10, v9, v109 dst_sel:DWORD dst_unused:UNUSED_PAD src0_sel:DWORD src1_sel:BYTE_0
	s_waitcnt lgkmcnt(0)
	s_barrier
	global_load_dwordx4 v[0:3], v10, s[8:9] offset:688
	global_load_dwordx4 v[4:7], v10, s[8:9] offset:672
	;; [unrolled: 1-line block ×4, first 2 shown]
	v_mul_lo_u16_sdwa v10, v48, s4 dst_sel:DWORD dst_unused:UNUSED_PAD src0_sel:BYTE_0 src1_sel:DWORD
	v_lshrrev_b16_e32 v110, 13, v10
	v_mul_lo_u16_e32 v10, 44, v110
	v_sub_u16_e32 v111, v48, v10
	v_lshlrev_b32_sdwa v9, v9, v111 dst_sel:DWORD dst_unused:UNUSED_PAD src0_sel:DWORD src1_sel:BYTE_0
	global_load_dwordx4 v[20:23], v9, s[8:9] offset:672
	global_load_dwordx4 v[24:27], v9, s[8:9] offset:688
	;; [unrolled: 1-line block ×4, first 2 shown]
	v_add_u32_e32 v10, v104, v107
	ds_read_b128 v[36:39], v101
	ds_read_b128 v[40:43], v101 offset:5280
	ds_read_b128 v[53:56], v101 offset:10560
	;; [unrolled: 1-line block ×5, first 2 shown]
	v_add_u32_e32 v9, v105, v108
	v_add_u32_e32 v11, v103, v106
	ds_read_b128 v[69:72], v10
	ds_read_b128 v[73:76], v9
	;; [unrolled: 1-line block ×3, first 2 shown]
	ds_read_b128 v[81:84], v101 offset:15840
	s_mov_b32 s10, 0x134454ff
	s_mov_b32 s11, 0x3fee6f0e
	;; [unrolled: 1-line block ×10, first 2 shown]
	v_mul_u32_u24_e32 v8, 0xdc0, v8
	s_waitcnt vmcnt(0) lgkmcnt(0)
	s_barrier
	v_mul_f64 v[87:88], v[75:76], v[2:3]
	v_mul_f64 v[85:86], v[71:72], v[6:7]
	;; [unrolled: 1-line block ×16, first 2 shown]
	v_fma_f64 v[69:70], v[69:70], v[4:5], -v[85:86]
	v_fma_f64 v[4:5], v[71:72], v[4:5], v[6:7]
	v_fma_f64 v[6:7], v[73:74], v[0:1], -v[87:88]
	v_fma_f64 v[0:1], v[75:76], v[0:1], v[2:3]
	;; [unrolled: 2-line block ×8, first 2 shown]
	v_add_f64 v[14:15], v[36:37], v[69:70]
	v_add_f64 v[20:21], v[6:7], v[2:3]
	v_add_f64 v[28:29], v[69:70], -v[6:7]
	v_add_f64 v[32:33], v[18:19], -v[2:3]
	v_add_f64 v[59:60], v[69:70], v[18:19]
	v_add_f64 v[22:23], v[4:5], -v[12:13]
	v_add_f64 v[24:25], v[0:1], -v[16:17]
	;; [unrolled: 1-line block ×4, first 2 shown]
	v_add_f64 v[65:66], v[38:39], v[4:5]
	v_add_f64 v[67:68], v[0:1], v[16:17]
	v_add_f64 v[71:72], v[6:7], -v[2:3]
	v_add_f64 v[73:74], v[4:5], -v[0:1]
	v_add_f64 v[81:82], v[4:5], v[12:13]
	v_add_f64 v[83:84], v[0:1], -v[4:5]
	v_add_f64 v[4:5], v[77:78], v[40:41]
	v_add_f64 v[6:7], v[14:15], v[6:7]
	v_fma_f64 v[14:15], v[20:21], -0.5, v[36:37]
	v_add_f64 v[20:21], v[28:29], v[32:33]
	v_fma_f64 v[28:29], v[59:60], -0.5, v[36:37]
	v_add_f64 v[87:88], v[53:54], v[55:56]
	v_add_f64 v[69:70], v[69:70], -v[18:19]
	v_add_f64 v[32:33], v[61:62], v[63:64]
	v_add_f64 v[0:1], v[65:66], v[0:1]
	v_fma_f64 v[36:37], v[67:68], -0.5, v[38:39]
	v_fma_f64 v[38:39], v[81:82], -0.5, v[38:39]
	v_add_f64 v[61:62], v[4:5], v[53:54]
	v_add_f64 v[2:3], v[6:7], v[2:3]
	v_fma_f64 v[4:5], v[22:23], s[10:11], v[14:15]
	v_fma_f64 v[6:7], v[22:23], s[14:15], v[14:15]
	;; [unrolled: 1-line block ×4, first 2 shown]
	v_add_f64 v[89:90], v[42:43], -v[34:35]
	v_fma_f64 v[63:64], v[87:88], -0.5, v[77:78]
	v_add_f64 v[75:76], v[12:13], -v[16:17]
	v_add_f64 v[85:86], v[16:17], -v[12:13]
	v_add_f64 v[16:17], v[0:1], v[16:17]
	v_fma_f64 v[65:66], v[69:70], s[14:15], v[36:37]
	v_fma_f64 v[36:37], v[69:70], s[10:11], v[36:37]
	;; [unrolled: 1-line block ×8, first 2 shown]
	v_add_f64 v[91:92], v[26:27], -v[30:31]
	v_add_f64 v[93:94], v[40:41], -v[53:54]
	;; [unrolled: 1-line block ×3, first 2 shown]
	v_fma_f64 v[24:25], v[89:90], s[10:11], v[63:64]
	v_add_f64 v[59:60], v[73:74], v[75:76]
	v_add_f64 v[0:1], v[2:3], v[18:19]
	;; [unrolled: 1-line block ×3, first 2 shown]
	v_fma_f64 v[18:19], v[71:72], s[12:13], v[65:66]
	v_fma_f64 v[4:5], v[20:21], s[6:7], v[4:5]
	;; [unrolled: 1-line block ×6, first 2 shown]
	v_add_f64 v[22:23], v[40:41], v[57:58]
	v_fma_f64 v[28:29], v[69:70], s[12:13], v[67:68]
	v_add_f64 v[32:33], v[83:84], v[85:86]
	v_fma_f64 v[36:37], v[69:70], s[4:5], v[38:39]
	;; [unrolled: 2-line block ×4, first 2 shown]
	v_fma_f64 v[67:68], v[22:23], -0.5, v[77:78]
	v_add_f64 v[69:70], v[79:80], v[42:43]
	v_fma_f64 v[18:19], v[32:33], s[6:7], v[28:29]
	v_fma_f64 v[22:23], v[32:33], s[6:7], v[36:37]
	v_add_f64 v[32:33], v[26:27], v[30:31]
	v_fma_f64 v[14:15], v[59:60], s[6:7], v[14:15]
	v_fma_f64 v[28:29], v[65:66], s[6:7], v[61:62]
	v_add_f64 v[61:62], v[42:43], v[34:35]
	v_fma_f64 v[36:37], v[89:90], s[14:15], v[63:64]
	v_add_f64 v[59:60], v[53:54], -v[40:41]
	v_add_f64 v[63:64], v[55:56], -v[57:58]
	;; [unrolled: 1-line block ×3, first 2 shown]
	v_fma_f64 v[32:33], v[32:33], -0.5, v[79:80]
	v_add_f64 v[53:54], v[53:54], -v[55:56]
	v_add_f64 v[24:25], v[38:39], v[57:58]
	v_fma_f64 v[55:56], v[61:62], -0.5, v[79:80]
	v_add_f64 v[61:62], v[69:70], v[26:27]
	v_fma_f64 v[38:39], v[91:92], s[14:15], v[67:68]
	v_add_f64 v[57:58], v[59:60], v[63:64]
	v_fma_f64 v[59:60], v[91:92], s[10:11], v[67:68]
	v_fma_f64 v[63:64], v[40:41], s[14:15], v[32:33]
	v_add_f64 v[67:68], v[42:43], -v[26:27]
	v_add_f64 v[69:70], v[34:35], -v[30:31]
	v_fma_f64 v[71:72], v[53:54], s[10:11], v[55:56]
	v_add_f64 v[26:27], v[26:27], -v[42:43]
	v_add_f64 v[42:43], v[30:31], -v[34:35]
	v_fma_f64 v[32:33], v[40:41], s[10:11], v[32:33]
	v_fma_f64 v[55:56], v[53:54], s[14:15], v[55:56]
	v_add_f64 v[30:31], v[61:62], v[30:31]
	v_fma_f64 v[61:62], v[53:54], s[12:13], v[63:64]
	v_add_f64 v[63:64], v[67:68], v[69:70]
	v_fma_f64 v[36:37], v[91:92], s[12:13], v[36:37]
	v_fma_f64 v[38:39], v[89:90], s[4:5], v[38:39]
	v_fma_f64 v[67:68], v[40:41], s[12:13], v[71:72]
	v_add_f64 v[42:43], v[26:27], v[42:43]
	v_fma_f64 v[59:60], v[89:90], s[12:13], v[59:60]
	v_fma_f64 v[53:54], v[53:54], s[4:5], v[32:33]
	;; [unrolled: 4-line block ×3, first 2 shown]
	v_fma_f64 v[36:37], v[57:58], s[6:7], v[38:39]
	v_fma_f64 v[38:39], v[42:43], s[6:7], v[67:68]
	;; [unrolled: 1-line block ×5, first 2 shown]
	v_mov_b32_e32 v53, 4
	v_lshlrev_b32_sdwa v54, v53, v109 dst_sel:DWORD dst_unused:UNUSED_PAD src0_sel:DWORD src1_sel:BYTE_0
	v_add3_u32 v8, 0, v8, v54
	ds_write_b128 v8, v[0:3]
	ds_write_b128 v8, v[4:7] offset:704
	ds_write_b128 v8, v[16:19] offset:1408
	;; [unrolled: 1-line block ×4, first 2 shown]
	v_mul_u32_u24_e32 v0, 0xdc0, v110
	v_lshlrev_b32_sdwa v1, v53, v111 dst_sel:DWORD dst_unused:UNUSED_PAD src0_sel:DWORD src1_sel:BYTE_0
	v_add3_u32 v0, 0, v0, v1
	v_lshlrev_b32_e32 v3, 2, v44
	v_mov_b32_e32 v4, 0
	ds_write_b128 v0, v[24:27]
	ds_write_b128 v0, v[28:31] offset:704
	ds_write_b128 v0, v[36:39] offset:1408
	;; [unrolled: 1-line block ×4, first 2 shown]
	v_lshlrev_b64 v[0:1], 4, v[3:4]
	v_mov_b32_e32 v2, s9
	v_add_co_u32_e32 v0, vcc, s8, v0
	v_addc_co_u32_e32 v1, vcc, v2, v1, vcc
	s_waitcnt lgkmcnt(0)
	s_barrier
	global_load_dwordx4 v[5:8], v[0:1], off offset:3488
	global_load_dwordx4 v[12:15], v[0:1], off offset:3504
	;; [unrolled: 1-line block ×4, first 2 shown]
	v_lshlrev_b32_e32 v3, 2, v48
	v_lshlrev_b64 v[0:1], 4, v[3:4]
	v_add_co_u32_e32 v36, vcc, s8, v0
	v_addc_co_u32_e32 v37, vcc, v2, v1, vcc
	global_load_dwordx4 v[0:3], v[36:37], off offset:3488
	global_load_dwordx4 v[24:27], v[36:37], off offset:3504
	;; [unrolled: 1-line block ×4, first 2 shown]
	ds_read_b128 v[36:39], v10
	ds_read_b128 v[40:43], v9
	;; [unrolled: 1-line block ×4, first 2 shown]
	ds_read_b128 v[61:64], v101 offset:5280
	ds_read_b128 v[65:68], v101 offset:15840
	;; [unrolled: 1-line block ×6, first 2 shown]
	s_waitcnt vmcnt(0) lgkmcnt(0)
	s_barrier
	v_cmp_ne_u32_e32 vcc, 0, v44
	v_mul_f64 v[85:86], v[38:39], v[7:8]
	v_mul_f64 v[7:8], v[36:37], v[7:8]
	;; [unrolled: 1-line block ×6, first 2 shown]
	v_fma_f64 v[36:37], v[36:37], v[5:6], -v[85:86]
	v_fma_f64 v[7:8], v[38:39], v[5:6], v[7:8]
	v_fma_f64 v[38:39], v[40:41], v[12:13], -v[87:88]
	v_mul_f64 v[5:6], v[79:80], v[22:23]
	v_fma_f64 v[14:15], v[42:43], v[12:13], v[14:15]
	v_mul_f64 v[12:13], v[77:78], v[22:23]
	v_fma_f64 v[22:23], v[69:70], v[16:17], -v[89:90]
	v_mul_f64 v[40:41], v[63:64], v[2:3]
	v_mul_f64 v[2:3], v[61:62], v[2:3]
	v_add_f64 v[42:43], v[57:58], v[36:37]
	v_fma_f64 v[18:19], v[71:72], v[16:17], v[18:19]
	v_mul_f64 v[16:17], v[75:76], v[26:27]
	v_fma_f64 v[5:6], v[77:78], v[20:21], -v[5:6]
	v_fma_f64 v[69:70], v[79:80], v[20:21], v[12:13]
	v_mul_f64 v[20:21], v[73:74], v[26:27]
	v_add_f64 v[12:13], v[38:39], v[22:23]
	v_fma_f64 v[26:27], v[63:64], v[0:1], v[2:3]
	v_add_f64 v[2:3], v[42:43], v[38:39]
	v_fma_f64 v[40:41], v[61:62], v[0:1], -v[40:41]
	v_fma_f64 v[61:62], v[73:74], v[24:25], -v[16:17]
	v_mul_f64 v[0:1], v[83:84], v[30:31]
	v_mul_f64 v[16:17], v[81:82], v[30:31]
	v_fma_f64 v[42:43], v[75:76], v[24:25], v[20:21]
	v_mul_f64 v[20:21], v[67:68], v[34:35]
	v_mul_f64 v[24:25], v[65:66], v[34:35]
	v_add_f64 v[34:35], v[36:37], v[5:6]
	v_fma_f64 v[12:13], v[12:13], -0.5, v[57:58]
	v_add_f64 v[30:31], v[7:8], -v[69:70]
	v_add_f64 v[2:3], v[2:3], v[22:23]
	v_fma_f64 v[63:64], v[81:82], v[28:29], -v[0:1]
	v_fma_f64 v[71:72], v[83:84], v[28:29], v[16:17]
	v_add_f64 v[28:29], v[14:15], -v[18:19]
	v_fma_f64 v[65:66], v[65:66], v[32:33], -v[20:21]
	v_fma_f64 v[20:21], v[34:35], -0.5, v[57:58]
	v_fma_f64 v[67:68], v[67:68], v[32:33], v[24:25]
	v_fma_f64 v[16:17], v[30:31], s[10:11], v[12:13]
	v_add_f64 v[0:1], v[2:3], v[5:6]
	v_add_f64 v[2:3], v[36:37], -v[38:39]
	v_add_f64 v[24:25], v[5:6], -v[22:23]
	v_fma_f64 v[12:13], v[30:31], s[14:15], v[12:13]
	v_add_f64 v[32:33], v[59:60], v[7:8]
	v_add_f64 v[34:35], v[14:15], v[18:19]
	v_fma_f64 v[57:58], v[28:29], s[14:15], v[20:21]
	v_add_f64 v[73:74], v[38:39], -v[36:37]
	v_add_f64 v[75:76], v[22:23], -v[5:6]
	v_fma_f64 v[16:17], v[28:29], s[4:5], v[16:17]
	v_add_f64 v[2:3], v[2:3], v[24:25]
	v_fma_f64 v[12:13], v[28:29], s[12:13], v[12:13]
	v_fma_f64 v[20:21], v[28:29], s[10:11], v[20:21]
	v_add_f64 v[24:25], v[32:33], v[14:15]
	v_fma_f64 v[28:29], v[34:35], -0.5, v[59:60]
	v_add_f64 v[32:33], v[36:37], -v[5:6]
	v_fma_f64 v[34:35], v[30:31], s[4:5], v[57:58]
	v_add_f64 v[36:37], v[73:74], v[75:76]
	v_fma_f64 v[5:6], v[2:3], s[6:7], v[16:17]
	v_fma_f64 v[12:13], v[2:3], s[6:7], v[12:13]
	;; [unrolled: 1-line block ×3, first 2 shown]
	v_add_f64 v[30:31], v[7:8], v[69:70]
	v_add_f64 v[24:25], v[24:25], v[18:19]
	v_fma_f64 v[57:58], v[32:33], s[14:15], v[28:29]
	v_add_f64 v[22:23], v[38:39], -v[22:23]
	v_fma_f64 v[16:17], v[36:37], s[6:7], v[34:35]
	v_add_f64 v[34:35], v[61:62], v[63:64]
	v_add_f64 v[38:39], v[7:8], -v[14:15]
	v_fma_f64 v[20:21], v[36:37], s[6:7], v[2:3]
	v_fma_f64 v[30:31], v[30:31], -0.5, v[59:60]
	v_add_f64 v[36:37], v[53:54], v[40:41]
	v_add_f64 v[73:74], v[69:70], -v[18:19]
	v_add_f64 v[2:3], v[24:25], v[69:70]
	v_fma_f64 v[24:25], v[22:23], s[12:13], v[57:58]
	v_fma_f64 v[34:35], v[34:35], -0.5, v[53:54]
	v_add_f64 v[57:58], v[26:27], -v[67:68]
	v_add_f64 v[7:8], v[14:15], -v[7:8]
	v_fma_f64 v[59:60], v[22:23], s[10:11], v[30:31]
	v_add_f64 v[14:15], v[18:19], -v[69:70]
	v_fma_f64 v[18:19], v[22:23], s[14:15], v[30:31]
	v_add_f64 v[30:31], v[36:37], v[61:62]
	v_fma_f64 v[28:29], v[32:33], s[10:11], v[28:29]
	v_add_f64 v[38:39], v[38:39], v[73:74]
	v_fma_f64 v[36:37], v[57:58], s[10:11], v[34:35]
	v_add_f64 v[69:70], v[42:43], -v[71:72]
	v_add_f64 v[73:74], v[40:41], -v[61:62]
	v_add_f64 v[75:76], v[65:66], -v[63:64]
	v_fma_f64 v[59:60], v[32:33], s[12:13], v[59:60]
	v_add_f64 v[30:31], v[30:31], v[63:64]
	v_fma_f64 v[22:23], v[22:23], s[4:5], v[28:29]
	v_add_f64 v[28:29], v[40:41], v[65:66]
	v_add_f64 v[77:78], v[7:8], v[14:15]
	v_fma_f64 v[36:37], v[69:70], s[4:5], v[36:37]
	v_fma_f64 v[7:8], v[38:39], s[6:7], v[24:25]
	v_add_f64 v[73:74], v[73:74], v[75:76]
	v_fma_f64 v[32:33], v[32:33], s[4:5], v[18:19]
	v_add_f64 v[24:25], v[30:31], v[65:66]
	v_add_f64 v[30:31], v[42:43], v[71:72]
	v_fma_f64 v[14:15], v[38:39], s[6:7], v[22:23]
	v_add_f64 v[38:39], v[26:27], v[67:68]
	v_fma_f64 v[53:54], v[28:29], -0.5, v[53:54]
	v_fma_f64 v[18:19], v[77:78], s[6:7], v[59:60]
	v_fma_f64 v[28:29], v[73:74], s[6:7], v[36:37]
	v_add_f64 v[36:37], v[61:62], -v[40:41]
	v_add_f64 v[59:60], v[63:64], -v[65:66]
	v_add_f64 v[75:76], v[55:56], v[26:27]
	v_fma_f64 v[30:31], v[30:31], -0.5, v[55:56]
	v_add_f64 v[40:41], v[40:41], -v[65:66]
	v_fma_f64 v[22:23], v[77:78], s[6:7], v[32:33]
	v_fma_f64 v[32:33], v[57:58], s[14:15], v[34:35]
	v_add_f64 v[61:62], v[61:62], -v[63:64]
	v_fma_f64 v[38:39], v[38:39], -0.5, v[55:56]
	v_fma_f64 v[34:35], v[69:70], s[14:15], v[53:54]
	v_add_f64 v[55:56], v[36:37], v[59:60]
	v_fma_f64 v[36:37], v[69:70], s[10:11], v[53:54]
	v_add_f64 v[53:54], v[75:76], v[42:43]
	v_fma_f64 v[59:60], v[40:41], s[14:15], v[30:31]
	v_add_f64 v[63:64], v[26:27], -v[42:43]
	v_add_f64 v[65:66], v[67:68], -v[71:72]
	v_fma_f64 v[32:33], v[69:70], s[12:13], v[32:33]
	v_fma_f64 v[69:70], v[61:62], s[10:11], v[38:39]
	v_add_f64 v[26:27], v[42:43], -v[26:27]
	v_add_f64 v[42:43], v[71:72], -v[67:68]
	v_fma_f64 v[30:31], v[40:41], s[10:11], v[30:31]
	v_fma_f64 v[38:39], v[61:62], s[14:15], v[38:39]
	v_add_f64 v[53:54], v[53:54], v[71:72]
	v_fma_f64 v[59:60], v[61:62], s[12:13], v[59:60]
	v_add_f64 v[63:64], v[63:64], v[65:66]
	v_fma_f64 v[34:35], v[57:58], s[4:5], v[34:35]
	v_fma_f64 v[65:66], v[40:41], s[12:13], v[69:70]
	v_add_f64 v[42:43], v[26:27], v[42:43]
	v_fma_f64 v[57:58], v[57:58], s[12:13], v[36:37]
	v_fma_f64 v[61:62], v[61:62], s[4:5], v[30:31]
	;; [unrolled: 1-line block ×3, first 2 shown]
	v_add_f64 v[26:27], v[53:54], v[67:68]
	v_fma_f64 v[30:31], v[63:64], s[6:7], v[59:60]
	v_fma_f64 v[36:37], v[55:56], s[6:7], v[34:35]
	;; [unrolled: 1-line block ×7, first 2 shown]
	ds_write_b128 v101, v[0:3]
	ds_write_b128 v101, v[5:8] offset:3520
	ds_write_b128 v101, v[16:19] offset:7040
	;; [unrolled: 1-line block ×4, first 2 shown]
	ds_write_b128 v11, v[24:27]
	ds_write_b128 v11, v[28:31] offset:3520
	ds_write_b128 v11, v[36:39] offset:7040
	;; [unrolled: 1-line block ×4, first 2 shown]
	s_waitcnt lgkmcnt(0)
	s_barrier
	ds_read_b128 v[0:3], v101
	s_add_u32 s6, s8, 0x44a0
	s_addc_u32 s7, s9, 0
	v_sub_u32_e32 v12, 0, v45
                                        ; implicit-def: $vgpr7_vgpr8
                                        ; implicit-def: $vgpr5_vgpr6
	s_and_saveexec_b64 s[4:5], vcc
	s_xor_b64 s[4:5], exec, s[4:5]
	s_cbranch_execz .LBB0_19
; %bb.18:
	v_mov_b32_e32 v45, v4
	v_lshlrev_b64 v[4:5], 4, v[44:45]
	v_mov_b32_e32 v6, s7
	v_add_co_u32_e32 v4, vcc, s6, v4
	v_addc_co_u32_e32 v5, vcc, v6, v5, vcc
	global_load_dwordx4 v[13:16], v[4:5], off
	ds_read_b128 v[4:7], v12 offset:17600
	s_waitcnt lgkmcnt(0)
	v_add_f64 v[17:18], v[0:1], -v[4:5]
	v_add_f64 v[19:20], v[2:3], v[6:7]
	v_add_f64 v[2:3], v[2:3], -v[6:7]
	v_add_f64 v[0:1], v[0:1], v[4:5]
	v_mul_f64 v[6:7], v[17:18], 0.5
	v_mul_f64 v[17:18], v[19:20], 0.5
	;; [unrolled: 1-line block ×3, first 2 shown]
	s_waitcnt vmcnt(0)
	v_mul_f64 v[4:5], v[6:7], v[15:16]
	v_fma_f64 v[19:20], v[17:18], v[15:16], v[2:3]
	v_fma_f64 v[2:3], v[17:18], v[15:16], -v[2:3]
	v_fma_f64 v[15:16], v[0:1], 0.5, v[4:5]
	v_fma_f64 v[0:1], v[0:1], 0.5, -v[4:5]
	v_fma_f64 v[19:20], -v[13:14], v[6:7], v[19:20]
	v_fma_f64 v[2:3], -v[13:14], v[6:7], v[2:3]
	ds_write_b64 v101, v[19:20] offset:8
	ds_write_b64 v12, v[2:3] offset:17608
	v_fma_f64 v[5:6], v[17:18], v[13:14], v[15:16]
	v_fma_f64 v[7:8], -v[17:18], v[13:14], v[0:1]
                                        ; implicit-def: $vgpr0_vgpr1
.LBB0_19:
	s_or_saveexec_b64 s[4:5], s[4:5]
	v_sub_u32_e32 v4, 0, v49
	s_xor_b64 exec, exec, s[4:5]
	s_cbranch_execz .LBB0_21
; %bb.20:
	s_mov_b32 s8, 0
	s_mov_b32 s9, s8
	v_mov_b32_e32 v14, s9
	s_waitcnt lgkmcnt(0)
	v_add_f64 v[5:6], v[0:1], v[2:3]
	v_mov_b32_e32 v13, s8
	v_add_f64 v[7:8], v[0:1], -v[2:3]
	ds_write_b64 v101, v[13:14] offset:8
	ds_write_b64 v12, v[13:14] offset:17608
	v_mov_b32_e32 v2, 0
	ds_read_b64 v[0:1], v2 offset:8808
	s_waitcnt lgkmcnt(0)
	v_xor_b32_e32 v1, 0x80000000, v1
	ds_write_b64 v2, v[0:1] offset:8808
.LBB0_21:
	s_or_b64 exec, exec, s[4:5]
	v_mov_b32_e32 v49, 0
	s_waitcnt lgkmcnt(0)
	v_lshlrev_b64 v[0:1], 4, v[48:49]
	v_mov_b32_e32 v2, s7
	v_add_co_u32_e32 v0, vcc, s6, v0
	v_addc_co_u32_e32 v1, vcc, v2, v1, vcc
	global_load_dwordx4 v[0:3], v[0:1], off
	v_mov_b32_e32 v53, v49
	v_lshlrev_b64 v[13:14], 4, v[52:53]
	v_mov_b32_e32 v15, s7
	v_add_co_u32_e32 v13, vcc, s6, v13
	v_addc_co_u32_e32 v14, vcc, v15, v14, vcc
	global_load_dwordx4 v[13:16], v[13:14], off
	ds_write_b64 v101, v[5:6]
	ds_write_b64 v12, v[7:8] offset:17600
	ds_read_b128 v[5:8], v11
	ds_read_b128 v[17:20], v12 offset:15840
	v_mov_b32_e32 v52, v49
	v_mov_b32_e32 v29, s7
	s_waitcnt lgkmcnt(0)
	v_add_f64 v[21:22], v[5:6], -v[17:18]
	v_add_f64 v[23:24], v[7:8], v[19:20]
	v_add_f64 v[7:8], v[7:8], -v[19:20]
	v_add_f64 v[5:6], v[5:6], v[17:18]
	v_mul_f64 v[19:20], v[21:22], 0.5
	v_mul_f64 v[21:22], v[23:24], 0.5
	;; [unrolled: 1-line block ×3, first 2 shown]
	v_lshlrev_b64 v[23:24], 4, v[51:52]
	v_mov_b32_e32 v51, v49
	s_waitcnt vmcnt(1)
	v_mul_f64 v[17:18], v[19:20], v[2:3]
	v_fma_f64 v[25:26], v[21:22], v[2:3], v[7:8]
	v_fma_f64 v[2:3], v[21:22], v[2:3], -v[7:8]
	v_fma_f64 v[27:28], v[5:6], 0.5, v[17:18]
	v_fma_f64 v[17:18], v[5:6], 0.5, -v[17:18]
	v_add_co_u32_e32 v5, vcc, s6, v23
	v_addc_co_u32_e32 v6, vcc, v29, v24, vcc
	global_load_dwordx4 v[5:8], v[5:6], off
	v_fma_f64 v[23:24], -v[0:1], v[19:20], v[25:26]
	v_fma_f64 v[2:3], -v[0:1], v[19:20], v[2:3]
	v_fma_f64 v[19:20], v[21:22], v[0:1], v[27:28]
	v_fma_f64 v[0:1], -v[21:22], v[0:1], v[17:18]
	ds_write_b64 v11, v[23:24] offset:8
	ds_write_b64 v12, v[2:3] offset:15848
	ds_write_b64 v11, v[19:20]
	ds_write_b64 v12, v[0:1] offset:15840
	ds_read_b128 v[0:3], v10
	ds_read_b128 v[17:20], v12 offset:14080
	v_mov_b32_e32 v11, s7
	s_waitcnt lgkmcnt(0)
	v_add_f64 v[21:22], v[0:1], -v[17:18]
	v_add_f64 v[23:24], v[2:3], v[19:20]
	v_add_f64 v[2:3], v[2:3], -v[19:20]
	v_add_f64 v[0:1], v[0:1], v[17:18]
	v_mul_f64 v[19:20], v[21:22], 0.5
	v_mul_f64 v[21:22], v[23:24], 0.5
	;; [unrolled: 1-line block ×3, first 2 shown]
	v_lshlrev_b64 v[23:24], 4, v[50:51]
	s_waitcnt vmcnt(1)
	v_mul_f64 v[17:18], v[19:20], v[15:16]
	v_fma_f64 v[25:26], v[21:22], v[15:16], v[2:3]
	v_fma_f64 v[15:16], v[21:22], v[15:16], -v[2:3]
	v_fma_f64 v[27:28], v[0:1], 0.5, v[17:18]
	v_fma_f64 v[17:18], v[0:1], 0.5, -v[17:18]
	v_add_co_u32_e32 v0, vcc, s6, v23
	v_addc_co_u32_e32 v1, vcc, v11, v24, vcc
	global_load_dwordx4 v[0:3], v[0:1], off
	v_fma_f64 v[23:24], -v[13:14], v[19:20], v[25:26]
	v_fma_f64 v[15:16], -v[13:14], v[19:20], v[15:16]
	v_fma_f64 v[19:20], v[21:22], v[13:14], v[27:28]
	v_fma_f64 v[13:14], -v[21:22], v[13:14], v[17:18]
	v_add_u32_e32 v25, v102, v4
	ds_write_b64 v10, v[23:24] offset:8
	ds_write_b64 v12, v[15:16] offset:14088
	ds_write_b64 v10, v[19:20]
	ds_write_b64 v12, v[13:14] offset:14080
	ds_read_b128 v[13:16], v25
	ds_read_b128 v[17:20], v12 offset:12320
	s_waitcnt lgkmcnt(0)
	v_add_f64 v[10:11], v[13:14], -v[17:18]
	v_add_f64 v[21:22], v[15:16], v[19:20]
	v_add_f64 v[15:16], v[15:16], -v[19:20]
	v_add_f64 v[13:14], v[13:14], v[17:18]
	v_mul_f64 v[10:11], v[10:11], 0.5
	v_mul_f64 v[19:20], v[21:22], 0.5
	v_mul_f64 v[15:16], v[15:16], 0.5
	s_waitcnt vmcnt(1)
	v_mul_f64 v[17:18], v[10:11], v[7:8]
	v_fma_f64 v[21:22], v[19:20], v[7:8], v[15:16]
	v_fma_f64 v[7:8], v[19:20], v[7:8], -v[15:16]
	v_fma_f64 v[15:16], v[13:14], 0.5, v[17:18]
	v_fma_f64 v[13:14], v[13:14], 0.5, -v[17:18]
	v_fma_f64 v[17:18], -v[5:6], v[10:11], v[21:22]
	v_fma_f64 v[7:8], -v[5:6], v[10:11], v[7:8]
	v_fma_f64 v[10:11], v[19:20], v[5:6], v[15:16]
	v_fma_f64 v[4:5], -v[19:20], v[5:6], v[13:14]
	ds_write_b64 v25, v[17:18] offset:8
	ds_write_b64 v12, v[7:8] offset:12328
	ds_write_b64 v25, v[10:11]
	ds_write_b64 v12, v[4:5] offset:12320
	ds_read_b128 v[4:7], v9
	ds_read_b128 v[13:16], v12 offset:10560
	s_waitcnt lgkmcnt(0)
	v_add_f64 v[10:11], v[4:5], -v[13:14]
	v_add_f64 v[17:18], v[6:7], v[15:16]
	v_add_f64 v[6:7], v[6:7], -v[15:16]
	v_add_f64 v[4:5], v[4:5], v[13:14]
	v_mul_f64 v[10:11], v[10:11], 0.5
	v_mul_f64 v[15:16], v[17:18], 0.5
	;; [unrolled: 1-line block ×3, first 2 shown]
	s_waitcnt vmcnt(0)
	v_mul_f64 v[13:14], v[10:11], v[2:3]
	v_fma_f64 v[17:18], v[15:16], v[2:3], v[6:7]
	v_fma_f64 v[2:3], v[15:16], v[2:3], -v[6:7]
	v_fma_f64 v[6:7], v[4:5], 0.5, v[13:14]
	v_fma_f64 v[4:5], v[4:5], 0.5, -v[13:14]
	v_fma_f64 v[13:14], -v[0:1], v[10:11], v[17:18]
	v_fma_f64 v[2:3], -v[0:1], v[10:11], v[2:3]
	v_fma_f64 v[6:7], v[15:16], v[0:1], v[6:7]
	v_fma_f64 v[0:1], -v[15:16], v[0:1], v[4:5]
	ds_write_b64 v9, v[13:14] offset:8
	ds_write_b64 v12, v[2:3] offset:10568
	ds_write_b64 v9, v[6:7]
	ds_write_b64 v12, v[0:1] offset:10560
	s_waitcnt lgkmcnt(0)
	s_barrier
	s_and_saveexec_b64 s[4:5], s[0:1]
	s_cbranch_execz .LBB0_24
; %bb.22:
	v_mov_b32_e32 v45, v49
	v_mov_b32_e32 v0, s3
	v_add_co_u32_e32 v1, vcc, s2, v46
	v_lshlrev_b64 v[14:15], 4, v[44:45]
	ds_read_b128 v[2:5], v101
	ds_read_b128 v[6:9], v101 offset:1760
	ds_read_b128 v[10:13], v101 offset:3520
	v_addc_co_u32_e32 v0, vcc, v0, v47, vcc
	v_add_co_u32_e32 v14, vcc, v1, v14
	v_addc_co_u32_e32 v15, vcc, v0, v15, vcc
	s_waitcnt lgkmcnt(2)
	global_store_dwordx4 v[14:15], v[2:5], off
	s_waitcnt lgkmcnt(1)
	global_store_dwordx4 v[14:15], v[6:9], off offset:1760
	ds_read_b128 v[2:5], v101 offset:5280
	ds_read_b128 v[6:9], v101 offset:7040
	s_movk_i32 s0, 0x1000
	s_waitcnt lgkmcnt(2)
	global_store_dwordx4 v[14:15], v[10:13], off offset:3520
	s_nop 0
	v_add_co_u32_e32 v10, vcc, s0, v14
	v_addc_co_u32_e32 v11, vcc, 0, v15, vcc
	s_waitcnt lgkmcnt(1)
	global_store_dwordx4 v[10:11], v[2:5], off offset:1184
	ds_read_b128 v[2:5], v101 offset:8800
	s_waitcnt lgkmcnt(1)
	global_store_dwordx4 v[10:11], v[6:9], off offset:2944
	ds_read_b128 v[6:9], v101 offset:10560
	s_movk_i32 s0, 0x2000
	v_add_co_u32_e32 v10, vcc, s0, v14
	v_addc_co_u32_e32 v11, vcc, 0, v15, vcc
	s_waitcnt lgkmcnt(1)
	global_store_dwordx4 v[10:11], v[2:5], off offset:608
	s_waitcnt lgkmcnt(0)
	global_store_dwordx4 v[10:11], v[6:9], off offset:2368
	ds_read_b128 v[2:5], v101 offset:12320
	ds_read_b128 v[6:9], v101 offset:14080
	;; [unrolled: 1-line block ×3, first 2 shown]
	v_add_co_u32_e32 v14, vcc, 0x3000, v14
	v_addc_co_u32_e32 v15, vcc, 0, v15, vcc
	s_movk_i32 s0, 0x6d
	v_cmp_eq_u32_e32 vcc, s0, v44
	s_waitcnt lgkmcnt(2)
	global_store_dwordx4 v[14:15], v[2:5], off offset:32
	s_waitcnt lgkmcnt(1)
	global_store_dwordx4 v[14:15], v[6:9], off offset:1792
	;; [unrolled: 2-line block ×3, first 2 shown]
	s_and_b64 exec, exec, vcc
	s_cbranch_execz .LBB0_24
; %bb.23:
	v_mov_b32_e32 v2, 0
	ds_read_b128 v[2:5], v2 offset:17600
	v_add_co_u32_e32 v6, vcc, 0x4000, v1
	v_addc_co_u32_e32 v7, vcc, 0, v0, vcc
	s_waitcnt lgkmcnt(0)
	global_store_dwordx4 v[6:7], v[2:5], off offset:1216
.LBB0_24:
	s_endpgm
	.section	.rodata,"a",@progbits
	.p2align	6, 0x0
	.amdhsa_kernel fft_rtc_fwd_len1100_factors_2_2_11_5_5_wgs_110_tpt_110_dp_ip_CI_unitstride_sbrr_R2C_dirReg
		.amdhsa_group_segment_fixed_size 0
		.amdhsa_private_segment_fixed_size 0
		.amdhsa_kernarg_size 88
		.amdhsa_user_sgpr_count 6
		.amdhsa_user_sgpr_private_segment_buffer 1
		.amdhsa_user_sgpr_dispatch_ptr 0
		.amdhsa_user_sgpr_queue_ptr 0
		.amdhsa_user_sgpr_kernarg_segment_ptr 1
		.amdhsa_user_sgpr_dispatch_id 0
		.amdhsa_user_sgpr_flat_scratch_init 0
		.amdhsa_user_sgpr_private_segment_size 0
		.amdhsa_uses_dynamic_stack 0
		.amdhsa_system_sgpr_private_segment_wavefront_offset 0
		.amdhsa_system_sgpr_workgroup_id_x 1
		.amdhsa_system_sgpr_workgroup_id_y 0
		.amdhsa_system_sgpr_workgroup_id_z 0
		.amdhsa_system_sgpr_workgroup_info 0
		.amdhsa_system_vgpr_workitem_id 0
		.amdhsa_next_free_vgpr 158
		.amdhsa_next_free_sgpr 40
		.amdhsa_reserve_vcc 1
		.amdhsa_reserve_flat_scratch 0
		.amdhsa_float_round_mode_32 0
		.amdhsa_float_round_mode_16_64 0
		.amdhsa_float_denorm_mode_32 3
		.amdhsa_float_denorm_mode_16_64 3
		.amdhsa_dx10_clamp 1
		.amdhsa_ieee_mode 1
		.amdhsa_fp16_overflow 0
		.amdhsa_exception_fp_ieee_invalid_op 0
		.amdhsa_exception_fp_denorm_src 0
		.amdhsa_exception_fp_ieee_div_zero 0
		.amdhsa_exception_fp_ieee_overflow 0
		.amdhsa_exception_fp_ieee_underflow 0
		.amdhsa_exception_fp_ieee_inexact 0
		.amdhsa_exception_int_div_zero 0
	.end_amdhsa_kernel
	.text
.Lfunc_end0:
	.size	fft_rtc_fwd_len1100_factors_2_2_11_5_5_wgs_110_tpt_110_dp_ip_CI_unitstride_sbrr_R2C_dirReg, .Lfunc_end0-fft_rtc_fwd_len1100_factors_2_2_11_5_5_wgs_110_tpt_110_dp_ip_CI_unitstride_sbrr_R2C_dirReg
                                        ; -- End function
	.section	.AMDGPU.csdata,"",@progbits
; Kernel info:
; codeLenInByte = 10384
; NumSgprs: 44
; NumVgprs: 158
; ScratchSize: 0
; MemoryBound: 0
; FloatMode: 240
; IeeeMode: 1
; LDSByteSize: 0 bytes/workgroup (compile time only)
; SGPRBlocks: 5
; VGPRBlocks: 39
; NumSGPRsForWavesPerEU: 44
; NumVGPRsForWavesPerEU: 158
; Occupancy: 1
; WaveLimiterHint : 1
; COMPUTE_PGM_RSRC2:SCRATCH_EN: 0
; COMPUTE_PGM_RSRC2:USER_SGPR: 6
; COMPUTE_PGM_RSRC2:TRAP_HANDLER: 0
; COMPUTE_PGM_RSRC2:TGID_X_EN: 1
; COMPUTE_PGM_RSRC2:TGID_Y_EN: 0
; COMPUTE_PGM_RSRC2:TGID_Z_EN: 0
; COMPUTE_PGM_RSRC2:TIDIG_COMP_CNT: 0
	.type	__hip_cuid_a52415042a5ea5bc,@object ; @__hip_cuid_a52415042a5ea5bc
	.section	.bss,"aw",@nobits
	.globl	__hip_cuid_a52415042a5ea5bc
__hip_cuid_a52415042a5ea5bc:
	.byte	0                               ; 0x0
	.size	__hip_cuid_a52415042a5ea5bc, 1

	.ident	"AMD clang version 19.0.0git (https://github.com/RadeonOpenCompute/llvm-project roc-6.4.0 25133 c7fe45cf4b819c5991fe208aaa96edf142730f1d)"
	.section	".note.GNU-stack","",@progbits
	.addrsig
	.addrsig_sym __hip_cuid_a52415042a5ea5bc
	.amdgpu_metadata
---
amdhsa.kernels:
  - .args:
      - .actual_access:  read_only
        .address_space:  global
        .offset:         0
        .size:           8
        .value_kind:     global_buffer
      - .offset:         8
        .size:           8
        .value_kind:     by_value
      - .actual_access:  read_only
        .address_space:  global
        .offset:         16
        .size:           8
        .value_kind:     global_buffer
      - .actual_access:  read_only
        .address_space:  global
        .offset:         24
        .size:           8
        .value_kind:     global_buffer
      - .offset:         32
        .size:           8
        .value_kind:     by_value
      - .actual_access:  read_only
        .address_space:  global
        .offset:         40
        .size:           8
        .value_kind:     global_buffer
      - .actual_access:  read_only
        .address_space:  global
        .offset:         48
        .size:           8
        .value_kind:     global_buffer
      - .offset:         56
        .size:           4
        .value_kind:     by_value
      - .actual_access:  read_only
        .address_space:  global
        .offset:         64
        .size:           8
        .value_kind:     global_buffer
      - .actual_access:  read_only
        .address_space:  global
        .offset:         72
        .size:           8
        .value_kind:     global_buffer
      - .address_space:  global
        .offset:         80
        .size:           8
        .value_kind:     global_buffer
    .group_segment_fixed_size: 0
    .kernarg_segment_align: 8
    .kernarg_segment_size: 88
    .language:       OpenCL C
    .language_version:
      - 2
      - 0
    .max_flat_workgroup_size: 110
    .name:           fft_rtc_fwd_len1100_factors_2_2_11_5_5_wgs_110_tpt_110_dp_ip_CI_unitstride_sbrr_R2C_dirReg
    .private_segment_fixed_size: 0
    .sgpr_count:     44
    .sgpr_spill_count: 0
    .symbol:         fft_rtc_fwd_len1100_factors_2_2_11_5_5_wgs_110_tpt_110_dp_ip_CI_unitstride_sbrr_R2C_dirReg.kd
    .uniform_work_group_size: 1
    .uses_dynamic_stack: false
    .vgpr_count:     158
    .vgpr_spill_count: 0
    .wavefront_size: 64
amdhsa.target:   amdgcn-amd-amdhsa--gfx906
amdhsa.version:
  - 1
  - 2
...

	.end_amdgpu_metadata
